;; amdgpu-corpus repo=ROCm/vllm kind=compiled arch=gfx1250 opt=O3
	.amdgcn_target "amdgcn-amd-amdhsa--gfx1250"
	.amdhsa_code_object_version 6
	.section	.text._ZN4vllm24merge_attn_states_kernelIfLj128EEEvPT_PfPKS1_PKfS5_S7_jjj,"axG",@progbits,_ZN4vllm24merge_attn_states_kernelIfLj128EEEvPT_PfPKS1_PKfS5_S7_jjj,comdat
	.protected	_ZN4vllm24merge_attn_states_kernelIfLj128EEEvPT_PfPKS1_PKfS5_S7_jjj ; -- Begin function _ZN4vllm24merge_attn_states_kernelIfLj128EEEvPT_PfPKS1_PKfS5_S7_jjj
	.globl	_ZN4vllm24merge_attn_states_kernelIfLj128EEEvPT_PfPKS1_PKfS5_S7_jjj
	.p2align	8
	.type	_ZN4vllm24merge_attn_states_kernelIfLj128EEEvPT_PfPKS1_PKfS5_S7_jjj,@function
_ZN4vllm24merge_attn_states_kernelIfLj128EEEvPT_PfPKS1_PKfS5_S7_jjj: ; @_ZN4vllm24merge_attn_states_kernelIfLj128EEEvPT_PfPKS1_PKfS5_S7_jjj
; %bb.0:
	s_load_b96 s[16:18], s[0:1], 0x30
	s_bfe_u32 s2, ttmp6, 0x4000c
	s_and_b32 s3, ttmp6, 15
	s_add_co_i32 s2, s2, 1
	s_getreg_b32 s4, hwreg(HW_REG_IB_STS2, 6, 4)
	s_mul_i32 s5, ttmp9, s2
	s_delay_alu instid0(SALU_CYCLE_1) | instskip(SKIP_4) | instid1(SALU_CYCLE_1)
	s_add_co_i32 s3, s3, s5
	s_wait_kmcnt 0x0
	s_lshr_b32 s2, s18, 2
	s_cmp_eq_u32 s4, 0
	s_cselect_b32 s3, ttmp9, s3
	v_lshl_add_u32 v1, s3, 7, v0
	s_mul_i32 s3, s17, s16
	s_delay_alu instid0(SALU_CYCLE_1)
	s_mul_i32 s3, s3, s2
	s_delay_alu instid0(VALU_DEP_1) | instid1(SALU_CYCLE_1)
	v_cmp_gt_u32_e32 vcc_lo, s3, v1
	s_and_saveexec_b32 s3, vcc_lo
	s_cbranch_execz .LBB0_5
; %bb.1:
	s_cvt_f32_u32 s3, s2
	s_sub_co_i32 s4, 0, s2
	s_delay_alu instid0(SALU_CYCLE_2) | instskip(SKIP_1) | instid1(TRANS32_DEP_1)
	v_rcp_iflag_f32_e32 v0, s3
	v_nop
	v_readfirstlane_b32 s3, v0
	s_mul_f32 s3, s3, 0x4f7ffffe
	s_delay_alu instid0(SALU_CYCLE_3) | instskip(NEXT) | instid1(SALU_CYCLE_3)
	s_cvt_u32_f32 s3, s3
	s_mul_i32 s4, s4, s3
	s_delay_alu instid0(SALU_CYCLE_1) | instskip(NEXT) | instid1(SALU_CYCLE_1)
	s_mul_hi_u32 s4, s3, s4
	s_add_co_i32 s3, s3, s4
	s_sub_co_i32 s4, 0, s17
	v_mul_hi_u32 v0, v1, s3
	s_cvt_f32_u32 s3, s17
	s_delay_alu instid0(SALU_CYCLE_3) | instskip(NEXT) | instid1(VALU_DEP_1)
	v_rcp_iflag_f32_e32 v3, s3
	v_mul_lo_u32 v2, v0, s2
	s_delay_alu instid0(TRANS32_DEP_1) | instskip(SKIP_2) | instid1(SALU_CYCLE_3)
	v_readfirstlane_b32 s3, v3
	v_add_nc_u32_e32 v3, 1, v0
	s_mul_f32 s3, s3, 0x4f7ffffe
	s_cvt_u32_f32 s3, s3
	v_sub_nc_u32_e32 v2, v1, v2
	s_delay_alu instid0(SALU_CYCLE_2) | instskip(NEXT) | instid1(SALU_CYCLE_1)
	s_mul_i32 s4, s4, s3
	s_mul_hi_u32 s4, s3, s4
	s_delay_alu instid0(VALU_DEP_1)
	v_subrev_nc_u32_e32 v4, s2, v2
	v_cmp_le_u32_e32 vcc_lo, s2, v2
	s_add_co_i32 s3, s3, s4
	s_clause 0x1
	s_load_b128 s[12:15], s[0:1], 0x20
	s_load_b256 s[4:11], s[0:1], 0x0
	s_wait_xcnt 0x0
	s_mov_b32 s1, exec_lo
	v_dual_cndmask_b32 v0, v0, v3, vcc_lo :: v_dual_cndmask_b32 v2, v2, v4, vcc_lo
	s_delay_alu instid0(VALU_DEP_1) | instskip(NEXT) | instid1(VALU_DEP_2)
	v_add_nc_u32_e32 v3, 1, v0
	v_cmp_le_u32_e32 vcc_lo, s2, v2
	s_delay_alu instid0(VALU_DEP_2) | instskip(NEXT) | instid1(VALU_DEP_1)
	v_cndmask_b32_e32 v2, v0, v3, vcc_lo
	v_mul_hi_u32 v0, v2, s3
	s_delay_alu instid0(VALU_DEP_1) | instskip(NEXT) | instid1(VALU_DEP_1)
	v_mul_lo_u32 v3, v0, s17
	v_dual_add_nc_u32 v4, 1, v0 :: v_dual_sub_nc_u32 v3, v2, v3
	s_delay_alu instid0(VALU_DEP_1) | instskip(NEXT) | instid1(VALU_DEP_2)
	v_cmp_le_u32_e32 vcc_lo, s17, v3
	v_cndmask_b32_e32 v0, v0, v4, vcc_lo
	s_delay_alu instid0(VALU_DEP_1) | instskip(SKIP_1) | instid1(VALU_DEP_1)
	v_add_nc_u32_e32 v4, 1, v0
	v_subrev_nc_u32_e32 v5, s17, v3
	v_cndmask_b32_e32 v3, v3, v5, vcc_lo
	s_delay_alu instid0(VALU_DEP_1) | instskip(NEXT) | instid1(VALU_DEP_4)
	v_cmp_le_u32_e32 vcc_lo, s17, v3
	v_cndmask_b32_e32 v0, v0, v4, vcc_lo
	s_delay_alu instid0(VALU_DEP_1) | instskip(NEXT) | instid1(VALU_DEP_1)
	v_mul_lo_u32 v3, v0, s17
	v_sub_nc_u32_e32 v3, v2, v3
	s_delay_alu instid0(VALU_DEP_1)
	v_mad_u32 v0, v3, s16, v0
	s_wait_kmcnt 0x0
	s_clause 0x1
	global_load_b32 v3, v0, s[14:15] scale_offset
	global_load_b32 v4, v0, s[10:11] scale_offset
	s_wait_loadcnt 0x1
	v_cmp_neq_f32_e64 vcc_lo, 0x7f800000, |v3|
	v_cndmask_b32_e32 v3, 0xff800000, v3, vcc_lo
	s_wait_loadcnt 0x0
	v_cmp_neq_f32_e64 vcc_lo, 0x7f800000, |v4|
	v_cndmask_b32_e32 v4, 0xff800000, v4, vcc_lo
	s_delay_alu instid0(VALU_DEP_1) | instskip(NEXT) | instid1(VALU_DEP_1)
	v_dual_max_num_f32 v6, v4, v4 :: v_dual_max_num_f32 v5, v3, v3
	v_max_num_f32_e32 v6, v6, v5
	s_delay_alu instid0(VALU_DEP_1) | instskip(NEXT) | instid1(VALU_DEP_1)
	v_sub_f32_e32 v3, v3, v6
	v_mul_f32_e32 v7, 0x3fb8aa3b, v3
	v_sub_f32_e32 v5, v4, v6
	s_delay_alu instid0(VALU_DEP_2) | instskip(SKIP_1) | instid1(VALU_DEP_3)
	v_fma_f32 v10, 0x3fb8aa3b, v3, -v7
	v_rndne_f32_e32 v11, v7
	v_mul_f32_e32 v4, 0x3fb8aa3b, v5
	s_delay_alu instid0(VALU_DEP_3) | instskip(NEXT) | instid1(VALU_DEP_3)
	v_fmac_f32_e32 v10, 0x32a5705f, v3
	v_sub_f32_e32 v7, v7, v11
	s_delay_alu instid0(VALU_DEP_3) | instskip(SKIP_1) | instid1(VALU_DEP_3)
	v_fma_f32 v8, 0x3fb8aa3b, v5, -v4
	v_rndne_f32_e32 v9, v4
	v_add_f32_e32 v7, v7, v10
	v_cvt_i32_f32_e32 v10, v11
	s_delay_alu instid0(VALU_DEP_3) | instskip(SKIP_4) | instid1(TRANS32_DEP_1)
	v_sub_f32_e32 v4, v4, v9
	v_fmac_f32_e32 v8, 0x32a5705f, v5
	v_cmp_ngt_f32_e32 vcc_lo, 0xc2ce8ed0, v5
	v_exp_f32_e32 v7, v7
	v_nop
	v_ldexp_f32 v7, v7, v10
	v_add_f32_e32 v4, v4, v8
	v_cvt_i32_f32_e32 v8, v9
	v_mul_lo_u32 v9, v2, s2
	s_delay_alu instid0(VALU_DEP_3) | instskip(SKIP_1) | instid1(TRANS32_DEP_1)
	v_exp_f32_e32 v4, v4
	v_nop
	v_ldexp_f32 v4, v4, v8
	s_delay_alu instid0(VALU_DEP_1) | instskip(SKIP_3) | instid1(VALU_DEP_4)
	v_dual_cndmask_b32 v8, 0, v4, vcc_lo :: v_dual_sub_nc_u32 v4, v1, v9
	v_cmp_ngt_f32_e32 vcc_lo, 0xc2ce8ed0, v3
	v_cndmask_b32_e32 v10, 0, v7, vcc_lo
	v_cmp_nlt_f32_e32 vcc_lo, 0x42b17218, v5
	v_lshlrev_b32_e32 v5, 2, v4
	v_cndmask_b32_e32 v7, 0x7f800000, v8, vcc_lo
	v_cmp_nlt_f32_e32 vcc_lo, 0x42b17218, v3
	v_dual_mov_b32 v3, 0 :: v_dual_cndmask_b32 v8, 0x7f800000, v10
	s_delay_alu instid0(VALU_DEP_1)
	v_add_f32_e32 v1, v7, v8
	v_cmpx_gt_u32_e64 s18, v5
	s_cbranch_execz .LBB0_3
; %bb.2:
	v_mul_lo_u32 v2, v2, s18
	v_mov_b32_e32 v5, v3
	s_delay_alu instid0(VALU_DEP_1) | instskip(SKIP_1) | instid1(VALU_DEP_4)
	v_lshlrev_b64_e32 v[20:21], 4, v[4:5]
	v_div_scale_f32 v5, null, v1, v1, v7
	v_lshlrev_b64_e32 v[18:19], 2, v[2:3]
	v_div_scale_f32 v2, null, v1, v1, v8
	s_delay_alu instid0(VALU_DEP_1) | instskip(NEXT) | instid1(VALU_DEP_2)
	v_rcp_f32_e32 v9, v2
	v_add_nc_u64_e32 v[10:11], s[12:13], v[18:19]
	v_add_nc_u64_e32 v[12:13], s[8:9], v[18:19]
	s_delay_alu instid0(VALU_DEP_2) | instskip(NEXT) | instid1(VALU_DEP_2)
	v_add_nc_u64_e32 v[22:23], v[10:11], v[20:21]
	v_add_nc_u64_e32 v[24:25], v[12:13], v[20:21]
	global_load_b128 v[10:13], v[22:23], off
	global_load_b128 v[14:17], v[24:25], off
	s_wait_xcnt 0x1
	v_rcp_f32_e32 v22, v5
	v_fma_f32 v23, -v2, v9, 1.0
	s_wait_xcnt 0x0
	v_div_scale_f32 v25, vcc_lo, v8, v1, v8
	s_delay_alu instid0(TRANS32_DEP_1) | instskip(NEXT) | instid1(VALU_DEP_1)
	v_fma_f32 v24, -v5, v22, 1.0
	v_dual_fmac_f32 v22, v24, v22 :: v_dual_fmac_f32 v9, v23, v9
	v_div_scale_f32 v23, s0, v7, v1, v7
	s_delay_alu instid0(VALU_DEP_1) | instskip(NEXT) | instid1(VALU_DEP_1)
	v_mul_f32_e32 v26, v23, v22
	v_fma_f32 v28, -v5, v26, v23
	s_delay_alu instid0(VALU_DEP_1) | instskip(NEXT) | instid1(VALU_DEP_1)
	v_dual_mul_f32 v24, v25, v9 :: v_dual_fmac_f32 v26, v28, v22
	v_dual_fma_f32 v27, -v2, v24, v25 :: v_dual_fma_f32 v5, -v5, v26, v23
	s_delay_alu instid0(VALU_DEP_1) | instskip(NEXT) | instid1(VALU_DEP_1)
	v_fmac_f32_e32 v24, v27, v9
	v_fma_f32 v2, -v2, v24, v25
	s_delay_alu instid0(VALU_DEP_1) | instskip(SKIP_2) | instid1(VALU_DEP_2)
	v_div_fmas_f32 v2, v2, v9, v24
	s_mov_b32 vcc_lo, s0
	v_div_fmas_f32 v5, v5, v22, v26
	v_div_fixup_f32 v2, v2, v1, v8
	v_add_nc_u64_e32 v[8:9], s[4:5], v[18:19]
	s_delay_alu instid0(VALU_DEP_3) | instskip(NEXT) | instid1(VALU_DEP_2)
	v_div_fixup_f32 v18, v5, v1, v7
	v_add_nc_u64_e32 v[20:21], v[8:9], v[20:21]
	s_wait_loadcnt 0x1
	v_pk_mul_f32 v[10:11], v[2:3], v[10:11] op_sel_hi:[0,1]
	v_pk_mul_f32 v[12:13], v[2:3], v[12:13] op_sel_hi:[0,1]
	s_wait_loadcnt 0x0
	s_delay_alu instid0(VALU_DEP_2) | instskip(NEXT) | instid1(VALU_DEP_2)
	v_pk_fma_f32 v[8:9], v[18:19], v[14:15], v[10:11] op_sel_hi:[0,1,1]
	v_pk_fma_f32 v[10:11], v[18:19], v[16:17], v[12:13] op_sel_hi:[0,1,1]
	global_store_b128 v[20:21], v[8:11], off
.LBB0_3:
	s_wait_xcnt 0x0
	s_or_b32 exec_lo, exec_lo, s1
	v_cmp_eq_u32_e32 vcc_lo, 0, v4
	s_cmp_lg_u64 s[6:7], 0
	s_cselect_b32 s0, -1, 0
	s_delay_alu instid0(SALU_CYCLE_1) | instskip(NEXT) | instid1(SALU_CYCLE_1)
	s_and_b32 s0, s0, vcc_lo
	s_and_b32 exec_lo, exec_lo, s0
	s_cbranch_execz .LBB0_5
; %bb.4:
	v_cmp_gt_f32_e32 vcc_lo, 0x800000, v1
	v_cndmask_b32_e64 v2, 0, 32, vcc_lo
	v_cndmask_b32_e64 v4, 0, 0x41b17218, vcc_lo
	s_delay_alu instid0(VALU_DEP_2) | instskip(NEXT) | instid1(VALU_DEP_1)
	v_ldexp_f32 v1, v1, v2
	v_log_f32_e32 v1, v1
	v_nop
	s_delay_alu instid0(TRANS32_DEP_1) | instskip(SKIP_1) | instid1(VALU_DEP_2)
	v_mul_f32_e32 v2, 0x3f317217, v1
	v_cmp_gt_f32_e64 s0, 0x7f800000, |v1|
	v_fma_f32 v2, 0x3f317217, v1, -v2
	s_delay_alu instid0(VALU_DEP_1) | instskip(NEXT) | instid1(VALU_DEP_1)
	v_fmamk_f32 v2, v1, 0x3377d1cf, v2
	v_fmac_f32_e32 v2, 0x3f317217, v1
	s_delay_alu instid0(VALU_DEP_1) | instskip(NEXT) | instid1(VALU_DEP_1)
	v_dual_cndmask_b32 v2, v1, v2, s0 :: v_dual_mov_b32 v1, v3
	v_sub_f32_e32 v2, v2, v4
	s_delay_alu instid0(VALU_DEP_2) | instskip(NEXT) | instid1(VALU_DEP_2)
	v_lshl_add_u64 v[0:1], v[0:1], 2, s[6:7]
	v_add_f32_e32 v2, v6, v2
	global_store_b32 v[0:1], v2, off
.LBB0_5:
	s_endpgm
	.section	.rodata,"a",@progbits
	.p2align	6, 0x0
	.amdhsa_kernel _ZN4vllm24merge_attn_states_kernelIfLj128EEEvPT_PfPKS1_PKfS5_S7_jjj
		.amdhsa_group_segment_fixed_size 0
		.amdhsa_private_segment_fixed_size 0
		.amdhsa_kernarg_size 60
		.amdhsa_user_sgpr_count 2
		.amdhsa_user_sgpr_dispatch_ptr 0
		.amdhsa_user_sgpr_queue_ptr 0
		.amdhsa_user_sgpr_kernarg_segment_ptr 1
		.amdhsa_user_sgpr_dispatch_id 0
		.amdhsa_user_sgpr_kernarg_preload_length 0
		.amdhsa_user_sgpr_kernarg_preload_offset 0
		.amdhsa_user_sgpr_private_segment_size 0
		.amdhsa_wavefront_size32 1
		.amdhsa_uses_dynamic_stack 0
		.amdhsa_enable_private_segment 0
		.amdhsa_system_sgpr_workgroup_id_x 1
		.amdhsa_system_sgpr_workgroup_id_y 0
		.amdhsa_system_sgpr_workgroup_id_z 0
		.amdhsa_system_sgpr_workgroup_info 0
		.amdhsa_system_vgpr_workitem_id 0
		.amdhsa_next_free_vgpr 29
		.amdhsa_next_free_sgpr 19
		.amdhsa_named_barrier_count 0
		.amdhsa_reserve_vcc 1
		.amdhsa_float_round_mode_32 0
		.amdhsa_float_round_mode_16_64 0
		.amdhsa_float_denorm_mode_32 3
		.amdhsa_float_denorm_mode_16_64 3
		.amdhsa_fp16_overflow 0
		.amdhsa_memory_ordered 1
		.amdhsa_forward_progress 1
		.amdhsa_inst_pref_size 10
		.amdhsa_round_robin_scheduling 0
		.amdhsa_exception_fp_ieee_invalid_op 0
		.amdhsa_exception_fp_denorm_src 0
		.amdhsa_exception_fp_ieee_div_zero 0
		.amdhsa_exception_fp_ieee_overflow 0
		.amdhsa_exception_fp_ieee_underflow 0
		.amdhsa_exception_fp_ieee_inexact 0
		.amdhsa_exception_int_div_zero 0
	.end_amdhsa_kernel
	.section	.text._ZN4vllm24merge_attn_states_kernelIfLj128EEEvPT_PfPKS1_PKfS5_S7_jjj,"axG",@progbits,_ZN4vllm24merge_attn_states_kernelIfLj128EEEvPT_PfPKS1_PKfS5_S7_jjj,comdat
.Lfunc_end0:
	.size	_ZN4vllm24merge_attn_states_kernelIfLj128EEEvPT_PfPKS1_PKfS5_S7_jjj, .Lfunc_end0-_ZN4vllm24merge_attn_states_kernelIfLj128EEEvPT_PfPKS1_PKfS5_S7_jjj
                                        ; -- End function
	.set _ZN4vllm24merge_attn_states_kernelIfLj128EEEvPT_PfPKS1_PKfS5_S7_jjj.num_vgpr, 29
	.set _ZN4vllm24merge_attn_states_kernelIfLj128EEEvPT_PfPKS1_PKfS5_S7_jjj.num_agpr, 0
	.set _ZN4vllm24merge_attn_states_kernelIfLj128EEEvPT_PfPKS1_PKfS5_S7_jjj.numbered_sgpr, 19
	.set _ZN4vllm24merge_attn_states_kernelIfLj128EEEvPT_PfPKS1_PKfS5_S7_jjj.num_named_barrier, 0
	.set _ZN4vllm24merge_attn_states_kernelIfLj128EEEvPT_PfPKS1_PKfS5_S7_jjj.private_seg_size, 0
	.set _ZN4vllm24merge_attn_states_kernelIfLj128EEEvPT_PfPKS1_PKfS5_S7_jjj.uses_vcc, 1
	.set _ZN4vllm24merge_attn_states_kernelIfLj128EEEvPT_PfPKS1_PKfS5_S7_jjj.uses_flat_scratch, 0
	.set _ZN4vllm24merge_attn_states_kernelIfLj128EEEvPT_PfPKS1_PKfS5_S7_jjj.has_dyn_sized_stack, 0
	.set _ZN4vllm24merge_attn_states_kernelIfLj128EEEvPT_PfPKS1_PKfS5_S7_jjj.has_recursion, 0
	.set _ZN4vllm24merge_attn_states_kernelIfLj128EEEvPT_PfPKS1_PKfS5_S7_jjj.has_indirect_call, 0
	.section	.AMDGPU.csdata,"",@progbits
; Kernel info:
; codeLenInByte = 1256
; TotalNumSgprs: 21
; NumVgprs: 29
; ScratchSize: 0
; MemoryBound: 0
; FloatMode: 240
; IeeeMode: 1
; LDSByteSize: 0 bytes/workgroup (compile time only)
; SGPRBlocks: 0
; VGPRBlocks: 1
; NumSGPRsForWavesPerEU: 21
; NumVGPRsForWavesPerEU: 29
; NamedBarCnt: 0
; Occupancy: 16
; WaveLimiterHint : 0
; COMPUTE_PGM_RSRC2:SCRATCH_EN: 0
; COMPUTE_PGM_RSRC2:USER_SGPR: 2
; COMPUTE_PGM_RSRC2:TRAP_HANDLER: 0
; COMPUTE_PGM_RSRC2:TGID_X_EN: 1
; COMPUTE_PGM_RSRC2:TGID_Y_EN: 0
; COMPUTE_PGM_RSRC2:TGID_Z_EN: 0
; COMPUTE_PGM_RSRC2:TIDIG_COMP_CNT: 0
	.section	.text._ZN4vllm24merge_attn_states_kernelItLj128EEEvPT_PfPKS1_PKfS5_S7_jjj,"axG",@progbits,_ZN4vllm24merge_attn_states_kernelItLj128EEEvPT_PfPKS1_PKfS5_S7_jjj,comdat
	.protected	_ZN4vllm24merge_attn_states_kernelItLj128EEEvPT_PfPKS1_PKfS5_S7_jjj ; -- Begin function _ZN4vllm24merge_attn_states_kernelItLj128EEEvPT_PfPKS1_PKfS5_S7_jjj
	.globl	_ZN4vllm24merge_attn_states_kernelItLj128EEEvPT_PfPKS1_PKfS5_S7_jjj
	.p2align	8
	.type	_ZN4vllm24merge_attn_states_kernelItLj128EEEvPT_PfPKS1_PKfS5_S7_jjj,@function
_ZN4vllm24merge_attn_states_kernelItLj128EEEvPT_PfPKS1_PKfS5_S7_jjj: ; @_ZN4vllm24merge_attn_states_kernelItLj128EEEvPT_PfPKS1_PKfS5_S7_jjj
; %bb.0:
	s_load_b96 s[16:18], s[0:1], 0x30
	s_bfe_u32 s2, ttmp6, 0x4000c
	s_and_b32 s3, ttmp6, 15
	s_add_co_i32 s2, s2, 1
	s_getreg_b32 s4, hwreg(HW_REG_IB_STS2, 6, 4)
	s_mul_i32 s5, ttmp9, s2
	s_delay_alu instid0(SALU_CYCLE_1) | instskip(SKIP_4) | instid1(SALU_CYCLE_1)
	s_add_co_i32 s3, s3, s5
	s_wait_kmcnt 0x0
	s_lshr_b32 s2, s18, 3
	s_cmp_eq_u32 s4, 0
	s_cselect_b32 s3, ttmp9, s3
	v_lshl_add_u32 v1, s3, 7, v0
	s_mul_i32 s3, s17, s16
	s_delay_alu instid0(SALU_CYCLE_1)
	s_mul_i32 s3, s3, s2
	s_delay_alu instid0(VALU_DEP_1) | instid1(SALU_CYCLE_1)
	v_cmp_gt_u32_e32 vcc_lo, s3, v1
	s_and_saveexec_b32 s3, vcc_lo
	s_cbranch_execz .LBB1_5
; %bb.1:
	s_cvt_f32_u32 s3, s2
	s_sub_co_i32 s4, 0, s2
	s_delay_alu instid0(SALU_CYCLE_2) | instskip(SKIP_1) | instid1(TRANS32_DEP_1)
	v_rcp_iflag_f32_e32 v0, s3
	v_nop
	v_readfirstlane_b32 s3, v0
	s_mul_f32 s3, s3, 0x4f7ffffe
	s_delay_alu instid0(SALU_CYCLE_3) | instskip(NEXT) | instid1(SALU_CYCLE_3)
	s_cvt_u32_f32 s3, s3
	s_mul_i32 s4, s4, s3
	s_delay_alu instid0(SALU_CYCLE_1) | instskip(NEXT) | instid1(SALU_CYCLE_1)
	s_mul_hi_u32 s4, s3, s4
	s_add_co_i32 s3, s3, s4
	s_sub_co_i32 s4, 0, s17
	v_mul_hi_u32 v0, v1, s3
	s_cvt_f32_u32 s3, s17
	s_delay_alu instid0(SALU_CYCLE_3) | instskip(NEXT) | instid1(VALU_DEP_1)
	v_rcp_iflag_f32_e32 v3, s3
	v_mul_lo_u32 v2, v0, s2
	s_delay_alu instid0(TRANS32_DEP_1) | instskip(SKIP_2) | instid1(SALU_CYCLE_3)
	v_readfirstlane_b32 s3, v3
	v_add_nc_u32_e32 v3, 1, v0
	s_mul_f32 s3, s3, 0x4f7ffffe
	s_cvt_u32_f32 s3, s3
	v_sub_nc_u32_e32 v2, v1, v2
	s_delay_alu instid0(SALU_CYCLE_2) | instskip(NEXT) | instid1(SALU_CYCLE_1)
	s_mul_i32 s4, s4, s3
	s_mul_hi_u32 s4, s3, s4
	s_delay_alu instid0(VALU_DEP_1)
	v_subrev_nc_u32_e32 v4, s2, v2
	v_cmp_le_u32_e32 vcc_lo, s2, v2
	s_add_co_i32 s3, s3, s4
	s_clause 0x1
	s_load_b128 s[12:15], s[0:1], 0x20
	s_load_b256 s[4:11], s[0:1], 0x0
	s_wait_xcnt 0x0
	s_mov_b32 s1, exec_lo
	v_dual_cndmask_b32 v0, v0, v3, vcc_lo :: v_dual_cndmask_b32 v2, v2, v4, vcc_lo
	s_delay_alu instid0(VALU_DEP_1) | instskip(NEXT) | instid1(VALU_DEP_2)
	v_add_nc_u32_e32 v3, 1, v0
	v_cmp_le_u32_e32 vcc_lo, s2, v2
	s_delay_alu instid0(VALU_DEP_2) | instskip(NEXT) | instid1(VALU_DEP_1)
	v_cndmask_b32_e32 v2, v0, v3, vcc_lo
	v_mul_hi_u32 v0, v2, s3
	s_delay_alu instid0(VALU_DEP_1) | instskip(NEXT) | instid1(VALU_DEP_1)
	v_mul_lo_u32 v3, v0, s17
	v_dual_add_nc_u32 v4, 1, v0 :: v_dual_sub_nc_u32 v3, v2, v3
	s_delay_alu instid0(VALU_DEP_1) | instskip(NEXT) | instid1(VALU_DEP_2)
	v_cmp_le_u32_e32 vcc_lo, s17, v3
	v_cndmask_b32_e32 v0, v0, v4, vcc_lo
	s_delay_alu instid0(VALU_DEP_1) | instskip(SKIP_1) | instid1(VALU_DEP_1)
	v_add_nc_u32_e32 v4, 1, v0
	v_subrev_nc_u32_e32 v5, s17, v3
	v_cndmask_b32_e32 v3, v3, v5, vcc_lo
	s_delay_alu instid0(VALU_DEP_1) | instskip(NEXT) | instid1(VALU_DEP_4)
	v_cmp_le_u32_e32 vcc_lo, s17, v3
	v_cndmask_b32_e32 v0, v0, v4, vcc_lo
	s_delay_alu instid0(VALU_DEP_1) | instskip(NEXT) | instid1(VALU_DEP_1)
	v_mul_lo_u32 v3, v0, s17
	v_sub_nc_u32_e32 v3, v2, v3
	s_delay_alu instid0(VALU_DEP_1)
	v_mad_u32 v0, v3, s16, v0
	s_wait_kmcnt 0x0
	s_clause 0x1
	global_load_b32 v3, v0, s[14:15] scale_offset
	global_load_b32 v4, v0, s[10:11] scale_offset
	s_wait_loadcnt 0x1
	v_cmp_neq_f32_e64 vcc_lo, 0x7f800000, |v3|
	v_cndmask_b32_e32 v3, 0xff800000, v3, vcc_lo
	s_wait_loadcnt 0x0
	v_cmp_neq_f32_e64 vcc_lo, 0x7f800000, |v4|
	v_cndmask_b32_e32 v4, 0xff800000, v4, vcc_lo
	s_delay_alu instid0(VALU_DEP_1) | instskip(NEXT) | instid1(VALU_DEP_1)
	v_dual_max_num_f32 v6, v4, v4 :: v_dual_max_num_f32 v5, v3, v3
	v_max_num_f32_e32 v10, v6, v5
	s_delay_alu instid0(VALU_DEP_1) | instskip(NEXT) | instid1(VALU_DEP_1)
	v_sub_f32_e32 v5, v4, v10
	v_mul_f32_e32 v4, 0x3fb8aa3b, v5
	s_delay_alu instid0(VALU_DEP_1) | instskip(SKIP_1) | instid1(VALU_DEP_2)
	v_fma_f32 v7, 0x3fb8aa3b, v5, -v4
	v_rndne_f32_e32 v8, v4
	v_fmac_f32_e32 v7, 0x32a5705f, v5
	v_sub_f32_e32 v3, v3, v10
	s_delay_alu instid0(VALU_DEP_1) | instskip(SKIP_1) | instid1(VALU_DEP_2)
	v_mul_f32_e32 v6, 0x3fb8aa3b, v3
	v_cmp_ngt_f32_e32 vcc_lo, 0xc2ce8ed0, v5
	v_fma_f32 v9, 0x3fb8aa3b, v3, -v6
	v_sub_f32_e32 v4, v4, v8
	v_rndne_f32_e32 v11, v6
	s_delay_alu instid0(VALU_DEP_3) | instskip(NEXT) | instid1(VALU_DEP_3)
	v_fmac_f32_e32 v9, 0x32a5705f, v3
	v_add_f32_e32 v4, v4, v7
	v_cvt_i32_f32_e32 v7, v8
	v_mul_lo_u32 v8, v2, s2
	s_delay_alu instid0(VALU_DEP_3) | instskip(SKIP_1) | instid1(TRANS32_DEP_1)
	v_exp_f32_e32 v4, v4
	v_nop
	v_ldexp_f32 v4, v4, v7
	s_delay_alu instid0(VALU_DEP_1) | instskip(NEXT) | instid1(VALU_DEP_1)
	v_dual_sub_f32 v6, v6, v11 :: v_dual_cndmask_b32 v7, 0, v4
	v_add_f32_e32 v6, v6, v9
	v_cvt_i32_f32_e32 v9, v11
	v_cmp_ngt_f32_e32 vcc_lo, 0xc2ce8ed0, v3
	v_sub_nc_u32_e32 v4, v1, v8
	s_delay_alu instid0(VALU_DEP_4) | instskip(SKIP_1) | instid1(TRANS32_DEP_1)
	v_exp_f32_e32 v6, v6
	v_nop
	v_ldexp_f32 v6, v6, v9
	s_delay_alu instid0(VALU_DEP_1)
	v_cndmask_b32_e32 v6, 0, v6, vcc_lo
	v_cmp_nlt_f32_e32 vcc_lo, 0x42b17218, v5
	v_lshlrev_b32_e32 v5, 3, v4
	v_cndmask_b32_e32 v11, 0x7f800000, v7, vcc_lo
	v_cmp_nlt_f32_e32 vcc_lo, 0x42b17218, v3
	v_dual_mov_b32 v3, 0 :: v_dual_cndmask_b32 v12, 0x7f800000, v6
	s_delay_alu instid0(VALU_DEP_1)
	v_add_f32_e32 v1, v11, v12
	v_cmpx_gt_u32_e64 s18, v5
	s_cbranch_execz .LBB1_3
; %bb.2:
	v_mul_lo_u32 v2, v2, s18
	v_mov_b32_e32 v5, v3
	s_delay_alu instid0(VALU_DEP_1) | instskip(SKIP_1) | instid1(VALU_DEP_4)
	v_lshlrev_b64_e32 v[8:9], 4, v[4:5]
	v_div_scale_f32 v5, null, v1, v1, v11
	v_lshlrev_b64_e32 v[6:7], 1, v[2:3]
	v_div_scale_f32 v2, null, v1, v1, v12
	s_delay_alu instid0(VALU_DEP_1) | instskip(NEXT) | instid1(VALU_DEP_2)
	v_rcp_f32_e32 v13, v2
	v_add_nc_u64_e32 v[14:15], s[8:9], v[6:7]
	v_add_nc_u64_e32 v[16:17], s[12:13], v[6:7]
	;; [unrolled: 1-line block ×3, first 2 shown]
	s_delay_alu instid0(VALU_DEP_3) | instskip(NEXT) | instid1(VALU_DEP_3)
	v_add_nc_u64_e32 v[22:23], v[14:15], v[8:9]
	v_add_nc_u64_e32 v[24:25], v[16:17], v[8:9]
	global_load_b128 v[14:17], v[22:23], off
	global_load_b128 v[18:21], v[24:25], off
	s_wait_xcnt 0x1
	v_rcp_f32_e32 v22, v5
	v_fma_f32 v23, -v2, v13, 1.0
	s_wait_xcnt 0x0
	v_div_scale_f32 v25, vcc_lo, v12, v1, v12
	s_delay_alu instid0(TRANS32_DEP_1) | instskip(NEXT) | instid1(VALU_DEP_1)
	v_fma_f32 v24, -v5, v22, 1.0
	v_dual_fmac_f32 v22, v24, v22 :: v_dual_fmac_f32 v13, v23, v13
	v_div_scale_f32 v23, s0, v11, v1, v11
	s_delay_alu instid0(VALU_DEP_1) | instskip(NEXT) | instid1(VALU_DEP_1)
	v_mul_f32_e32 v26, v23, v22
	v_fma_f32 v28, -v5, v26, v23
	s_delay_alu instid0(VALU_DEP_1) | instskip(NEXT) | instid1(VALU_DEP_1)
	v_dual_mul_f32 v24, v25, v13 :: v_dual_fmac_f32 v26, v28, v22
	v_dual_fma_f32 v27, -v2, v24, v25 :: v_dual_fma_f32 v5, -v5, v26, v23
	s_delay_alu instid0(VALU_DEP_1) | instskip(NEXT) | instid1(VALU_DEP_1)
	v_fmac_f32_e32 v24, v27, v13
	v_fma_f32 v2, -v2, v24, v25
	s_delay_alu instid0(VALU_DEP_1) | instskip(SKIP_2) | instid1(VALU_DEP_2)
	v_div_fmas_f32 v2, v2, v13, v24
	s_mov_b32 vcc_lo, s0
	v_div_fmas_f32 v5, v5, v22, v26
	v_div_fixup_f32 v13, v2, v1, v12
	s_delay_alu instid0(VALU_DEP_2)
	v_div_fixup_f32 v12, v5, v1, v11
	s_wait_loadcnt 0x1
	v_and_b32_e32 v2, 0xffff, v14
	s_wait_loadcnt 0x0
	v_and_b32_e32 v23, 0xffff, v18
	;;#ASMSTART
	v_cvt_f32_f16 v22, v2;
	;;#ASMEND
	;;#ASMSTART
	v_cvt_f32_f16 v23, v23;
	;;#ASMEND
	s_delay_alu instid0(VALU_DEP_1)
	v_pk_mul_f32 v[22:23], v[12:13], v[22:23]
	v_lshrrev_b32_e32 v5, 16, v14
	v_lshrrev_b32_e32 v11, 16, v18
	v_and_b32_e32 v14, 0xffff, v19
	v_and_b32_e32 v18, 0xffff, v20
	v_add_f32_e32 v2, v22, v23
	;;#ASMSTART
	v_cvt_f16_f32 v2, v2;

	;;#ASMEND
	;;#ASMSTART
	v_cvt_f32_f16 v22, v5;
	;;#ASMEND
	;;#ASMSTART
	v_cvt_f32_f16 v23, v11;
	;;#ASMEND
	v_pk_mul_f32 v[22:23], v[12:13], v[22:23]
	v_and_b32_e32 v11, 0xffff, v15
	s_delay_alu instid0(VALU_DEP_2)
	v_add_f32_e32 v5, v22, v23
	;;#ASMSTART
	v_cvt_f16_f32 v5, v5;

	;;#ASMEND
	;;#ASMSTART
	v_cvt_f32_f16 v22, v11;
	;;#ASMEND
	;;#ASMSTART
	v_cvt_f32_f16 v23, v14;
	;;#ASMEND
	v_pk_mul_f32 v[22:23], v[12:13], v[22:23]
	v_lshrrev_b32_e32 v14, 16, v15
	v_lshrrev_b32_e32 v15, 16, v19
	s_delay_alu instid0(VALU_DEP_3) | instskip(SKIP_4) | instid1(VALU_DEP_1)
	v_add_f32_e32 v11, v22, v23
	;;#ASMSTART
	v_cvt_f16_f32 v11, v11;

	;;#ASMEND
	;;#ASMSTART
	v_cvt_f32_f16 v14, v14;
	;;#ASMEND
	;;#ASMSTART
	v_cvt_f32_f16 v15, v15;
	;;#ASMEND
	v_pk_mul_f32 v[14:15], v[12:13], v[14:15]
	v_add_f32_e32 v14, v14, v15
	v_and_b32_e32 v15, 0xffff, v16
	;;#ASMSTART
	v_cvt_f16_f32 v19, v14;

	;;#ASMEND
	;;#ASMSTART
	v_cvt_f32_f16 v14, v15;
	;;#ASMEND
	;;#ASMSTART
	v_cvt_f32_f16 v15, v18;
	;;#ASMEND
	s_delay_alu instid0(VALU_DEP_1) | instskip(NEXT) | instid1(VALU_DEP_1)
	v_pk_mul_f32 v[14:15], v[12:13], v[14:15]
	v_dual_add_f32 v14, v14, v15 :: v_dual_lshrrev_b32 v15, 16, v16
	v_lshrrev_b32_e32 v16, 16, v20
	;;#ASMSTART
	v_cvt_f16_f32 v18, v14;

	;;#ASMEND
	;;#ASMSTART
	v_cvt_f32_f16 v14, v15;
	;;#ASMEND
	;;#ASMSTART
	v_cvt_f32_f16 v15, v16;
	;;#ASMEND
	v_pk_mul_f32 v[14:15], v[12:13], v[14:15]
	v_and_b32_e32 v16, 0xffff, v21
	s_delay_alu instid0(VALU_DEP_2) | instskip(SKIP_4) | instid1(VALU_DEP_1)
	v_add_f32_e32 v14, v14, v15
	v_and_b32_e32 v15, 0xffff, v17
	;;#ASMSTART
	v_cvt_f16_f32 v20, v14;

	;;#ASMEND
	;;#ASMSTART
	v_cvt_f32_f16 v14, v15;
	;;#ASMEND
	;;#ASMSTART
	v_cvt_f32_f16 v15, v16;
	;;#ASMEND
	v_pk_mul_f32 v[14:15], v[12:13], v[14:15]
	s_delay_alu instid0(VALU_DEP_1) | instskip(SKIP_4) | instid1(VALU_DEP_1)
	v_dual_lshrrev_b32 v16, 16, v21 :: v_dual_add_f32 v14, v14, v15
	v_lshrrev_b32_e32 v15, 16, v17
	;;#ASMSTART
	v_cvt_f16_f32 v17, v14;

	;;#ASMEND
	;;#ASMSTART
	v_cvt_f32_f16 v14, v15;
	;;#ASMEND
	;;#ASMSTART
	v_cvt_f32_f16 v15, v16;
	;;#ASMEND
	v_pk_mul_f32 v[12:13], v[12:13], v[14:15]
	s_delay_alu instid0(VALU_DEP_1)
	v_add_f32_e32 v14, v12, v13
	v_add_nc_u64_e32 v[12:13], v[6:7], v[8:9]
	v_perm_b32 v6, v5, v2, 0x5040100
	v_perm_b32 v7, v19, v11, 0x5040100
	;;#ASMSTART
	v_cvt_f16_f32 v2, v14;

	;;#ASMEND
	v_perm_b32 v8, v20, v18, 0x5040100
	v_perm_b32 v9, v2, v17, 0x5040100
	global_store_b128 v[12:13], v[6:9], off
.LBB1_3:
	s_wait_xcnt 0x0
	s_or_b32 exec_lo, exec_lo, s1
	v_cmp_eq_u32_e32 vcc_lo, 0, v4
	s_cmp_lg_u64 s[6:7], 0
	s_cselect_b32 s0, -1, 0
	s_delay_alu instid0(SALU_CYCLE_1) | instskip(NEXT) | instid1(SALU_CYCLE_1)
	s_and_b32 s0, s0, vcc_lo
	s_and_b32 exec_lo, exec_lo, s0
	s_cbranch_execz .LBB1_5
; %bb.4:
	v_cmp_gt_f32_e32 vcc_lo, 0x800000, v1
	v_cndmask_b32_e64 v2, 0, 32, vcc_lo
	v_cndmask_b32_e64 v4, 0, 0x41b17218, vcc_lo
	s_delay_alu instid0(VALU_DEP_2) | instskip(NEXT) | instid1(VALU_DEP_1)
	v_ldexp_f32 v1, v1, v2
	v_log_f32_e32 v1, v1
	v_nop
	s_delay_alu instid0(TRANS32_DEP_1) | instskip(SKIP_1) | instid1(VALU_DEP_2)
	v_mul_f32_e32 v2, 0x3f317217, v1
	v_cmp_gt_f32_e64 s0, 0x7f800000, |v1|
	v_fma_f32 v2, 0x3f317217, v1, -v2
	s_delay_alu instid0(VALU_DEP_1) | instskip(NEXT) | instid1(VALU_DEP_1)
	v_fmamk_f32 v2, v1, 0x3377d1cf, v2
	v_fmac_f32_e32 v2, 0x3f317217, v1
	s_delay_alu instid0(VALU_DEP_1) | instskip(NEXT) | instid1(VALU_DEP_1)
	v_dual_cndmask_b32 v2, v1, v2, s0 :: v_dual_mov_b32 v1, v3
	v_sub_f32_e32 v2, v2, v4
	s_delay_alu instid0(VALU_DEP_2) | instskip(NEXT) | instid1(VALU_DEP_2)
	v_lshl_add_u64 v[0:1], v[0:1], 2, s[6:7]
	v_add_f32_e32 v2, v10, v2
	global_store_b32 v[0:1], v2, off
.LBB1_5:
	s_endpgm
	.section	.rodata,"a",@progbits
	.p2align	6, 0x0
	.amdhsa_kernel _ZN4vllm24merge_attn_states_kernelItLj128EEEvPT_PfPKS1_PKfS5_S7_jjj
		.amdhsa_group_segment_fixed_size 0
		.amdhsa_private_segment_fixed_size 0
		.amdhsa_kernarg_size 60
		.amdhsa_user_sgpr_count 2
		.amdhsa_user_sgpr_dispatch_ptr 0
		.amdhsa_user_sgpr_queue_ptr 0
		.amdhsa_user_sgpr_kernarg_segment_ptr 1
		.amdhsa_user_sgpr_dispatch_id 0
		.amdhsa_user_sgpr_kernarg_preload_length 0
		.amdhsa_user_sgpr_kernarg_preload_offset 0
		.amdhsa_user_sgpr_private_segment_size 0
		.amdhsa_wavefront_size32 1
		.amdhsa_uses_dynamic_stack 0
		.amdhsa_enable_private_segment 0
		.amdhsa_system_sgpr_workgroup_id_x 1
		.amdhsa_system_sgpr_workgroup_id_y 0
		.amdhsa_system_sgpr_workgroup_id_z 0
		.amdhsa_system_sgpr_workgroup_info 0
		.amdhsa_system_vgpr_workitem_id 0
		.amdhsa_next_free_vgpr 29
		.amdhsa_next_free_sgpr 19
		.amdhsa_named_barrier_count 0
		.amdhsa_reserve_vcc 1
		.amdhsa_float_round_mode_32 0
		.amdhsa_float_round_mode_16_64 0
		.amdhsa_float_denorm_mode_32 3
		.amdhsa_float_denorm_mode_16_64 3
		.amdhsa_fp16_overflow 0
		.amdhsa_memory_ordered 1
		.amdhsa_forward_progress 1
		.amdhsa_inst_pref_size 12
		.amdhsa_round_robin_scheduling 0
		.amdhsa_exception_fp_ieee_invalid_op 0
		.amdhsa_exception_fp_denorm_src 0
		.amdhsa_exception_fp_ieee_div_zero 0
		.amdhsa_exception_fp_ieee_overflow 0
		.amdhsa_exception_fp_ieee_underflow 0
		.amdhsa_exception_fp_ieee_inexact 0
		.amdhsa_exception_int_div_zero 0
	.end_amdhsa_kernel
	.section	.text._ZN4vllm24merge_attn_states_kernelItLj128EEEvPT_PfPKS1_PKfS5_S7_jjj,"axG",@progbits,_ZN4vllm24merge_attn_states_kernelItLj128EEEvPT_PfPKS1_PKfS5_S7_jjj,comdat
.Lfunc_end1:
	.size	_ZN4vllm24merge_attn_states_kernelItLj128EEEvPT_PfPKS1_PKfS5_S7_jjj, .Lfunc_end1-_ZN4vllm24merge_attn_states_kernelItLj128EEEvPT_PfPKS1_PKfS5_S7_jjj
                                        ; -- End function
	.set _ZN4vllm24merge_attn_states_kernelItLj128EEEvPT_PfPKS1_PKfS5_S7_jjj.num_vgpr, 29
	.set _ZN4vllm24merge_attn_states_kernelItLj128EEEvPT_PfPKS1_PKfS5_S7_jjj.num_agpr, 0
	.set _ZN4vllm24merge_attn_states_kernelItLj128EEEvPT_PfPKS1_PKfS5_S7_jjj.numbered_sgpr, 19
	.set _ZN4vllm24merge_attn_states_kernelItLj128EEEvPT_PfPKS1_PKfS5_S7_jjj.num_named_barrier, 0
	.set _ZN4vllm24merge_attn_states_kernelItLj128EEEvPT_PfPKS1_PKfS5_S7_jjj.private_seg_size, 0
	.set _ZN4vllm24merge_attn_states_kernelItLj128EEEvPT_PfPKS1_PKfS5_S7_jjj.uses_vcc, 1
	.set _ZN4vllm24merge_attn_states_kernelItLj128EEEvPT_PfPKS1_PKfS5_S7_jjj.uses_flat_scratch, 0
	.set _ZN4vllm24merge_attn_states_kernelItLj128EEEvPT_PfPKS1_PKfS5_S7_jjj.has_dyn_sized_stack, 0
	.set _ZN4vllm24merge_attn_states_kernelItLj128EEEvPT_PfPKS1_PKfS5_S7_jjj.has_recursion, 0
	.set _ZN4vllm24merge_attn_states_kernelItLj128EEEvPT_PfPKS1_PKfS5_S7_jjj.has_indirect_call, 0
	.section	.AMDGPU.csdata,"",@progbits
; Kernel info:
; codeLenInByte = 1492
; TotalNumSgprs: 21
; NumVgprs: 29
; ScratchSize: 0
; MemoryBound: 0
; FloatMode: 240
; IeeeMode: 1
; LDSByteSize: 0 bytes/workgroup (compile time only)
; SGPRBlocks: 0
; VGPRBlocks: 1
; NumSGPRsForWavesPerEU: 21
; NumVGPRsForWavesPerEU: 29
; NamedBarCnt: 0
; Occupancy: 16
; WaveLimiterHint : 0
; COMPUTE_PGM_RSRC2:SCRATCH_EN: 0
; COMPUTE_PGM_RSRC2:USER_SGPR: 2
; COMPUTE_PGM_RSRC2:TRAP_HANDLER: 0
; COMPUTE_PGM_RSRC2:TGID_X_EN: 1
; COMPUTE_PGM_RSRC2:TGID_Y_EN: 0
; COMPUTE_PGM_RSRC2:TGID_Z_EN: 0
; COMPUTE_PGM_RSRC2:TIDIG_COMP_CNT: 0
	.section	.text._ZN4vllm24merge_attn_states_kernelI14__hip_bfloat16Lj128EEEvPT_PfPKS2_PKfS6_S8_jjj,"axG",@progbits,_ZN4vllm24merge_attn_states_kernelI14__hip_bfloat16Lj128EEEvPT_PfPKS2_PKfS6_S8_jjj,comdat
	.protected	_ZN4vllm24merge_attn_states_kernelI14__hip_bfloat16Lj128EEEvPT_PfPKS2_PKfS6_S8_jjj ; -- Begin function _ZN4vllm24merge_attn_states_kernelI14__hip_bfloat16Lj128EEEvPT_PfPKS2_PKfS6_S8_jjj
	.globl	_ZN4vllm24merge_attn_states_kernelI14__hip_bfloat16Lj128EEEvPT_PfPKS2_PKfS6_S8_jjj
	.p2align	8
	.type	_ZN4vllm24merge_attn_states_kernelI14__hip_bfloat16Lj128EEEvPT_PfPKS2_PKfS6_S8_jjj,@function
_ZN4vllm24merge_attn_states_kernelI14__hip_bfloat16Lj128EEEvPT_PfPKS2_PKfS6_S8_jjj: ; @_ZN4vllm24merge_attn_states_kernelI14__hip_bfloat16Lj128EEEvPT_PfPKS2_PKfS6_S8_jjj
; %bb.0:
	s_load_b96 s[16:18], s[0:1], 0x30
	s_bfe_u32 s2, ttmp6, 0x4000c
	s_and_b32 s3, ttmp6, 15
	s_add_co_i32 s2, s2, 1
	s_getreg_b32 s4, hwreg(HW_REG_IB_STS2, 6, 4)
	s_mul_i32 s5, ttmp9, s2
	s_delay_alu instid0(SALU_CYCLE_1) | instskip(SKIP_4) | instid1(SALU_CYCLE_1)
	s_add_co_i32 s3, s3, s5
	s_wait_kmcnt 0x0
	s_lshr_b32 s2, s18, 3
	s_cmp_eq_u32 s4, 0
	s_cselect_b32 s3, ttmp9, s3
	v_lshl_add_u32 v1, s3, 7, v0
	s_mul_i32 s3, s17, s16
	s_delay_alu instid0(SALU_CYCLE_1)
	s_mul_i32 s3, s3, s2
	s_delay_alu instid0(VALU_DEP_1) | instid1(SALU_CYCLE_1)
	v_cmp_gt_u32_e32 vcc_lo, s3, v1
	s_and_saveexec_b32 s3, vcc_lo
	s_cbranch_execz .LBB2_5
; %bb.1:
	s_cvt_f32_u32 s3, s2
	s_sub_co_i32 s4, 0, s2
	s_delay_alu instid0(SALU_CYCLE_2) | instskip(SKIP_1) | instid1(TRANS32_DEP_1)
	v_rcp_iflag_f32_e32 v0, s3
	v_nop
	v_readfirstlane_b32 s3, v0
	s_mul_f32 s3, s3, 0x4f7ffffe
	s_delay_alu instid0(SALU_CYCLE_3) | instskip(NEXT) | instid1(SALU_CYCLE_3)
	s_cvt_u32_f32 s3, s3
	s_mul_i32 s4, s4, s3
	s_delay_alu instid0(SALU_CYCLE_1) | instskip(NEXT) | instid1(SALU_CYCLE_1)
	s_mul_hi_u32 s4, s3, s4
	s_add_co_i32 s3, s3, s4
	s_sub_co_i32 s4, 0, s17
	v_mul_hi_u32 v0, v1, s3
	s_cvt_f32_u32 s3, s17
	s_delay_alu instid0(SALU_CYCLE_3) | instskip(NEXT) | instid1(VALU_DEP_1)
	v_rcp_iflag_f32_e32 v3, s3
	v_mul_lo_u32 v2, v0, s2
	s_delay_alu instid0(TRANS32_DEP_1) | instskip(SKIP_2) | instid1(SALU_CYCLE_3)
	v_readfirstlane_b32 s3, v3
	v_add_nc_u32_e32 v3, 1, v0
	s_mul_f32 s3, s3, 0x4f7ffffe
	s_cvt_u32_f32 s3, s3
	v_sub_nc_u32_e32 v2, v1, v2
	s_delay_alu instid0(SALU_CYCLE_2) | instskip(NEXT) | instid1(SALU_CYCLE_1)
	s_mul_i32 s4, s4, s3
	s_mul_hi_u32 s4, s3, s4
	s_delay_alu instid0(VALU_DEP_1)
	v_subrev_nc_u32_e32 v4, s2, v2
	v_cmp_le_u32_e32 vcc_lo, s2, v2
	s_add_co_i32 s3, s3, s4
	s_clause 0x1
	s_load_b128 s[12:15], s[0:1], 0x20
	s_load_b256 s[4:11], s[0:1], 0x0
	s_wait_xcnt 0x0
	s_mov_b32 s1, exec_lo
	v_dual_cndmask_b32 v0, v0, v3, vcc_lo :: v_dual_cndmask_b32 v2, v2, v4, vcc_lo
	s_delay_alu instid0(VALU_DEP_1) | instskip(NEXT) | instid1(VALU_DEP_2)
	v_add_nc_u32_e32 v3, 1, v0
	v_cmp_le_u32_e32 vcc_lo, s2, v2
	s_delay_alu instid0(VALU_DEP_2) | instskip(NEXT) | instid1(VALU_DEP_1)
	v_cndmask_b32_e32 v2, v0, v3, vcc_lo
	v_mul_hi_u32 v0, v2, s3
	s_delay_alu instid0(VALU_DEP_1) | instskip(NEXT) | instid1(VALU_DEP_1)
	v_mul_lo_u32 v3, v0, s17
	v_dual_add_nc_u32 v4, 1, v0 :: v_dual_sub_nc_u32 v3, v2, v3
	s_delay_alu instid0(VALU_DEP_1) | instskip(NEXT) | instid1(VALU_DEP_2)
	v_cmp_le_u32_e32 vcc_lo, s17, v3
	v_cndmask_b32_e32 v0, v0, v4, vcc_lo
	s_delay_alu instid0(VALU_DEP_1) | instskip(SKIP_1) | instid1(VALU_DEP_1)
	v_add_nc_u32_e32 v4, 1, v0
	v_subrev_nc_u32_e32 v5, s17, v3
	v_cndmask_b32_e32 v3, v3, v5, vcc_lo
	s_delay_alu instid0(VALU_DEP_1) | instskip(NEXT) | instid1(VALU_DEP_4)
	v_cmp_le_u32_e32 vcc_lo, s17, v3
	v_cndmask_b32_e32 v0, v0, v4, vcc_lo
	s_delay_alu instid0(VALU_DEP_1) | instskip(NEXT) | instid1(VALU_DEP_1)
	v_mul_lo_u32 v3, v0, s17
	v_sub_nc_u32_e32 v3, v2, v3
	s_delay_alu instid0(VALU_DEP_1)
	v_mad_u32 v0, v3, s16, v0
	s_wait_kmcnt 0x0
	s_clause 0x1
	global_load_b32 v3, v0, s[14:15] scale_offset
	global_load_b32 v4, v0, s[10:11] scale_offset
	s_wait_loadcnt 0x1
	v_cmp_neq_f32_e64 vcc_lo, 0x7f800000, |v3|
	v_cndmask_b32_e32 v3, 0xff800000, v3, vcc_lo
	s_wait_loadcnt 0x0
	v_cmp_neq_f32_e64 vcc_lo, 0x7f800000, |v4|
	v_cndmask_b32_e32 v4, 0xff800000, v4, vcc_lo
	s_delay_alu instid0(VALU_DEP_1) | instskip(NEXT) | instid1(VALU_DEP_1)
	v_dual_max_num_f32 v6, v4, v4 :: v_dual_max_num_f32 v5, v3, v3
	v_max_num_f32_e32 v6, v6, v5
	s_delay_alu instid0(VALU_DEP_1) | instskip(NEXT) | instid1(VALU_DEP_1)
	v_sub_f32_e32 v3, v3, v6
	v_mul_f32_e32 v7, 0x3fb8aa3b, v3
	v_sub_f32_e32 v5, v4, v6
	s_delay_alu instid0(VALU_DEP_2) | instskip(SKIP_1) | instid1(VALU_DEP_3)
	v_fma_f32 v10, 0x3fb8aa3b, v3, -v7
	v_rndne_f32_e32 v11, v7
	v_mul_f32_e32 v4, 0x3fb8aa3b, v5
	s_delay_alu instid0(VALU_DEP_3) | instskip(NEXT) | instid1(VALU_DEP_3)
	v_fmac_f32_e32 v10, 0x32a5705f, v3
	v_sub_f32_e32 v7, v7, v11
	s_delay_alu instid0(VALU_DEP_3) | instskip(SKIP_1) | instid1(VALU_DEP_3)
	v_fma_f32 v8, 0x3fb8aa3b, v5, -v4
	v_rndne_f32_e32 v9, v4
	v_add_f32_e32 v7, v7, v10
	v_cvt_i32_f32_e32 v10, v11
	s_delay_alu instid0(VALU_DEP_3) | instskip(SKIP_4) | instid1(TRANS32_DEP_1)
	v_sub_f32_e32 v4, v4, v9
	v_fmac_f32_e32 v8, 0x32a5705f, v5
	v_cmp_ngt_f32_e32 vcc_lo, 0xc2ce8ed0, v5
	v_exp_f32_e32 v7, v7
	v_nop
	v_ldexp_f32 v7, v7, v10
	v_add_f32_e32 v4, v4, v8
	v_cvt_i32_f32_e32 v8, v9
	v_mul_lo_u32 v9, v2, s2
	s_delay_alu instid0(VALU_DEP_3) | instskip(SKIP_1) | instid1(TRANS32_DEP_1)
	v_exp_f32_e32 v4, v4
	v_nop
	v_ldexp_f32 v4, v4, v8
	s_delay_alu instid0(VALU_DEP_1) | instskip(SKIP_3) | instid1(VALU_DEP_4)
	v_dual_cndmask_b32 v8, 0, v4, vcc_lo :: v_dual_sub_nc_u32 v4, v1, v9
	v_cmp_ngt_f32_e32 vcc_lo, 0xc2ce8ed0, v3
	v_cndmask_b32_e32 v10, 0, v7, vcc_lo
	v_cmp_nlt_f32_e32 vcc_lo, 0x42b17218, v5
	v_lshlrev_b32_e32 v5, 3, v4
	v_cndmask_b32_e32 v7, 0x7f800000, v8, vcc_lo
	v_cmp_nlt_f32_e32 vcc_lo, 0x42b17218, v3
	v_dual_mov_b32 v3, 0 :: v_dual_cndmask_b32 v8, 0x7f800000, v10
	s_delay_alu instid0(VALU_DEP_1)
	v_add_f32_e32 v1, v7, v8
	v_cmpx_gt_u32_e64 s18, v5
	s_cbranch_execz .LBB2_3
; %bb.2:
	v_mul_lo_u32 v2, v2, s18
	v_mov_b32_e32 v5, v3
	s_delay_alu instid0(VALU_DEP_1) | instskip(SKIP_1) | instid1(VALU_DEP_4)
	v_lshlrev_b64_e32 v[20:21], 4, v[4:5]
	v_div_scale_f32 v5, null, v1, v1, v8
	v_lshlrev_b64_e32 v[18:19], 1, v[2:3]
	v_div_scale_f32 v2, null, v1, v1, v7
	s_delay_alu instid0(VALU_DEP_1) | instskip(NEXT) | instid1(VALU_DEP_2)
	v_rcp_f32_e32 v9, v2
	v_add_nc_u64_e32 v[10:11], s[8:9], v[18:19]
	v_add_nc_u64_e32 v[12:13], s[12:13], v[18:19]
	;; [unrolled: 1-line block ×3, first 2 shown]
	s_delay_alu instid0(VALU_DEP_3) | instskip(NEXT) | instid1(VALU_DEP_3)
	v_add_nc_u64_e32 v[22:23], v[10:11], v[20:21]
	v_add_nc_u64_e32 v[24:25], v[12:13], v[20:21]
	global_load_b128 v[10:13], v[22:23], off
	global_load_b128 v[14:17], v[24:25], off
	s_wait_xcnt 0x1
	v_rcp_f32_e32 v22, v5
	v_fma_f32 v23, -v2, v9, 1.0
	s_wait_xcnt 0x0
	v_div_scale_f32 v25, vcc_lo, v7, v1, v7
	s_delay_alu instid0(TRANS32_DEP_1) | instskip(NEXT) | instid1(VALU_DEP_1)
	v_fma_f32 v24, -v5, v22, 1.0
	v_dual_fmac_f32 v22, v24, v22 :: v_dual_fmac_f32 v9, v23, v9
	v_div_scale_f32 v23, s0, v8, v1, v8
	s_delay_alu instid0(VALU_DEP_1) | instskip(NEXT) | instid1(VALU_DEP_1)
	v_mul_f32_e32 v26, v23, v22
	v_fma_f32 v28, -v5, v26, v23
	s_delay_alu instid0(VALU_DEP_1) | instskip(NEXT) | instid1(VALU_DEP_1)
	v_dual_mul_f32 v24, v25, v9 :: v_dual_fmac_f32 v26, v28, v22
	v_dual_fma_f32 v27, -v2, v24, v25 :: v_dual_fma_f32 v5, -v5, v26, v23
	s_delay_alu instid0(VALU_DEP_1) | instskip(NEXT) | instid1(VALU_DEP_1)
	v_fmac_f32_e32 v24, v27, v9
	v_fma_f32 v2, -v2, v24, v25
	s_delay_alu instid0(VALU_DEP_1) | instskip(SKIP_2) | instid1(VALU_DEP_2)
	v_div_fmas_f32 v2, v2, v9, v24
	s_mov_b32 vcc_lo, s0
	v_div_fmas_f32 v5, v5, v22, v26
	v_div_fixup_f32 v9, v2, v1, v7
	s_delay_alu instid0(VALU_DEP_2) | instskip(NEXT) | instid1(VALU_DEP_1)
	v_div_fixup_f32 v8, v5, v1, v8
	v_mov_b32_e32 v23, v8
	s_wait_loadcnt 0x0
	v_bfi_b32 v2, 0xffff, v15, v11
	v_bfi_b32 v5, 0xffff, v14, v10
	;; [unrolled: 1-line block ×6, first 2 shown]
	v_dual_mov_b32 v22, v9 :: v_dual_lshlrev_b32 v10, 16, v5
	v_bfi_b32 v30, 0xffff, v17, v13
	v_bfi_b32 v24, 0xffff, v16, v12
	v_dual_lshlrev_b32 v12, 16, v2 :: v_dual_lshlrev_b32 v16, 16, v7
	v_and_b32_e32 v15, 0xffff0000, v14
	v_lshlrev_b32_e32 v14, 16, v14
	v_and_b32_e32 v17, 0xffff0000, v7
	v_and_b32_e32 v27, 0xffff0000, v26
	v_lshlrev_b32_e32 v26, 16, v26
	v_and_b32_e32 v29, 0xffff0000, v28
	v_lshlrev_b32_e32 v28, 16, v28
	v_and_b32_e32 v11, 0xffff0000, v5
	v_and_b32_e32 v13, 0xffff0000, v2
	;; [unrolled: 1-line block ×3, first 2 shown]
	v_lshlrev_b32_e32 v24, 16, v24
	v_and_b32_e32 v31, 0xffff0000, v30
	v_lshlrev_b32_e32 v30, 16, v30
	v_pk_mul_f32 v[26:27], v[22:23], v[26:27]
	v_pk_mul_f32 v[28:29], v[22:23], v[28:29]
	;; [unrolled: 1-line block ×4, first 2 shown]
	s_delay_alu instid0(VALU_DEP_4) | instskip(NEXT) | instid1(VALU_DEP_4)
	v_pk_fma_f32 v[22:23], v[8:9], v[30:31], v[26:27]
	v_pk_fma_f32 v[24:25], v[8:9], v[24:25], v[28:29]
	s_delay_alu instid0(VALU_DEP_4) | instskip(NEXT) | instid1(VALU_DEP_4)
	v_pk_fma_f32 v[12:13], v[8:9], v[12:13], v[14:15]
	v_pk_fma_f32 v[14:15], v[8:9], v[10:11], v[16:17]
	v_add_nc_u64_e32 v[16:17], v[18:19], v[20:21]
	v_cvt_pk_bf16_f32 v11, v22, v23
	v_cvt_pk_bf16_f32 v10, v24, v25
	;; [unrolled: 1-line block ×4, first 2 shown]
	global_store_b128 v[16:17], v[8:11], off
.LBB2_3:
	s_wait_xcnt 0x0
	s_or_b32 exec_lo, exec_lo, s1
	v_cmp_eq_u32_e32 vcc_lo, 0, v4
	s_cmp_lg_u64 s[6:7], 0
	s_cselect_b32 s0, -1, 0
	s_delay_alu instid0(SALU_CYCLE_1) | instskip(NEXT) | instid1(SALU_CYCLE_1)
	s_and_b32 s0, s0, vcc_lo
	s_and_b32 exec_lo, exec_lo, s0
	s_cbranch_execz .LBB2_5
; %bb.4:
	v_cmp_gt_f32_e32 vcc_lo, 0x800000, v1
	v_cndmask_b32_e64 v2, 0, 32, vcc_lo
	v_cndmask_b32_e64 v4, 0, 0x41b17218, vcc_lo
	s_delay_alu instid0(VALU_DEP_2) | instskip(NEXT) | instid1(VALU_DEP_1)
	v_ldexp_f32 v1, v1, v2
	v_log_f32_e32 v1, v1
	v_nop
	s_delay_alu instid0(TRANS32_DEP_1) | instskip(SKIP_1) | instid1(VALU_DEP_2)
	v_mul_f32_e32 v2, 0x3f317217, v1
	v_cmp_gt_f32_e64 s0, 0x7f800000, |v1|
	v_fma_f32 v2, 0x3f317217, v1, -v2
	s_delay_alu instid0(VALU_DEP_1) | instskip(NEXT) | instid1(VALU_DEP_1)
	v_fmamk_f32 v2, v1, 0x3377d1cf, v2
	v_fmac_f32_e32 v2, 0x3f317217, v1
	s_delay_alu instid0(VALU_DEP_1) | instskip(NEXT) | instid1(VALU_DEP_1)
	v_dual_cndmask_b32 v2, v1, v2, s0 :: v_dual_mov_b32 v1, v3
	v_sub_f32_e32 v2, v2, v4
	s_delay_alu instid0(VALU_DEP_2) | instskip(NEXT) | instid1(VALU_DEP_2)
	v_lshl_add_u64 v[0:1], v[0:1], 2, s[6:7]
	v_add_f32_e32 v2, v6, v2
	global_store_b32 v[0:1], v2, off
.LBB2_5:
	s_endpgm
	.section	.rodata,"a",@progbits
	.p2align	6, 0x0
	.amdhsa_kernel _ZN4vllm24merge_attn_states_kernelI14__hip_bfloat16Lj128EEEvPT_PfPKS2_PKfS6_S8_jjj
		.amdhsa_group_segment_fixed_size 0
		.amdhsa_private_segment_fixed_size 0
		.amdhsa_kernarg_size 60
		.amdhsa_user_sgpr_count 2
		.amdhsa_user_sgpr_dispatch_ptr 0
		.amdhsa_user_sgpr_queue_ptr 0
		.amdhsa_user_sgpr_kernarg_segment_ptr 1
		.amdhsa_user_sgpr_dispatch_id 0
		.amdhsa_user_sgpr_kernarg_preload_length 0
		.amdhsa_user_sgpr_kernarg_preload_offset 0
		.amdhsa_user_sgpr_private_segment_size 0
		.amdhsa_wavefront_size32 1
		.amdhsa_uses_dynamic_stack 0
		.amdhsa_enable_private_segment 0
		.amdhsa_system_sgpr_workgroup_id_x 1
		.amdhsa_system_sgpr_workgroup_id_y 0
		.amdhsa_system_sgpr_workgroup_id_z 0
		.amdhsa_system_sgpr_workgroup_info 0
		.amdhsa_system_vgpr_workitem_id 0
		.amdhsa_next_free_vgpr 32
		.amdhsa_next_free_sgpr 19
		.amdhsa_named_barrier_count 0
		.amdhsa_reserve_vcc 1
		.amdhsa_float_round_mode_32 0
		.amdhsa_float_round_mode_16_64 0
		.amdhsa_float_denorm_mode_32 3
		.amdhsa_float_denorm_mode_16_64 3
		.amdhsa_fp16_overflow 0
		.amdhsa_memory_ordered 1
		.amdhsa_forward_progress 1
		.amdhsa_inst_pref_size 12
		.amdhsa_round_robin_scheduling 0
		.amdhsa_exception_fp_ieee_invalid_op 0
		.amdhsa_exception_fp_denorm_src 0
		.amdhsa_exception_fp_ieee_div_zero 0
		.amdhsa_exception_fp_ieee_overflow 0
		.amdhsa_exception_fp_ieee_underflow 0
		.amdhsa_exception_fp_ieee_inexact 0
		.amdhsa_exception_int_div_zero 0
	.end_amdhsa_kernel
	.section	.text._ZN4vllm24merge_attn_states_kernelI14__hip_bfloat16Lj128EEEvPT_PfPKS2_PKfS6_S8_jjj,"axG",@progbits,_ZN4vllm24merge_attn_states_kernelI14__hip_bfloat16Lj128EEEvPT_PfPKS2_PKfS6_S8_jjj,comdat
.Lfunc_end2:
	.size	_ZN4vllm24merge_attn_states_kernelI14__hip_bfloat16Lj128EEEvPT_PfPKS2_PKfS6_S8_jjj, .Lfunc_end2-_ZN4vllm24merge_attn_states_kernelI14__hip_bfloat16Lj128EEEvPT_PfPKS2_PKfS6_S8_jjj
                                        ; -- End function
	.set _ZN4vllm24merge_attn_states_kernelI14__hip_bfloat16Lj128EEEvPT_PfPKS2_PKfS6_S8_jjj.num_vgpr, 32
	.set _ZN4vllm24merge_attn_states_kernelI14__hip_bfloat16Lj128EEEvPT_PfPKS2_PKfS6_S8_jjj.num_agpr, 0
	.set _ZN4vllm24merge_attn_states_kernelI14__hip_bfloat16Lj128EEEvPT_PfPKS2_PKfS6_S8_jjj.numbered_sgpr, 19
	.set _ZN4vllm24merge_attn_states_kernelI14__hip_bfloat16Lj128EEEvPT_PfPKS2_PKfS6_S8_jjj.num_named_barrier, 0
	.set _ZN4vllm24merge_attn_states_kernelI14__hip_bfloat16Lj128EEEvPT_PfPKS2_PKfS6_S8_jjj.private_seg_size, 0
	.set _ZN4vllm24merge_attn_states_kernelI14__hip_bfloat16Lj128EEEvPT_PfPKS2_PKfS6_S8_jjj.uses_vcc, 1
	.set _ZN4vllm24merge_attn_states_kernelI14__hip_bfloat16Lj128EEEvPT_PfPKS2_PKfS6_S8_jjj.uses_flat_scratch, 0
	.set _ZN4vllm24merge_attn_states_kernelI14__hip_bfloat16Lj128EEEvPT_PfPKS2_PKfS6_S8_jjj.has_dyn_sized_stack, 0
	.set _ZN4vllm24merge_attn_states_kernelI14__hip_bfloat16Lj128EEEvPT_PfPKS2_PKfS6_S8_jjj.has_recursion, 0
	.set _ZN4vllm24merge_attn_states_kernelI14__hip_bfloat16Lj128EEEvPT_PfPKS2_PKfS6_S8_jjj.has_indirect_call, 0
	.section	.AMDGPU.csdata,"",@progbits
; Kernel info:
; codeLenInByte = 1528
; TotalNumSgprs: 21
; NumVgprs: 32
; ScratchSize: 0
; MemoryBound: 0
; FloatMode: 240
; IeeeMode: 1
; LDSByteSize: 0 bytes/workgroup (compile time only)
; SGPRBlocks: 0
; VGPRBlocks: 1
; NumSGPRsForWavesPerEU: 21
; NumVGPRsForWavesPerEU: 32
; NamedBarCnt: 0
; Occupancy: 16
; WaveLimiterHint : 0
; COMPUTE_PGM_RSRC2:SCRATCH_EN: 0
; COMPUTE_PGM_RSRC2:USER_SGPR: 2
; COMPUTE_PGM_RSRC2:TRAP_HANDLER: 0
; COMPUTE_PGM_RSRC2:TGID_X_EN: 1
; COMPUTE_PGM_RSRC2:TGID_Y_EN: 0
; COMPUTE_PGM_RSRC2:TGID_Z_EN: 0
; COMPUTE_PGM_RSRC2:TIDIG_COMP_CNT: 0
	.section	.AMDGPU.gpr_maximums,"",@progbits
	.set amdgpu.max_num_vgpr, 0
	.set amdgpu.max_num_agpr, 0
	.set amdgpu.max_num_sgpr, 0
	.section	.AMDGPU.csdata,"",@progbits
	.type	__hip_cuid_b219e836c9020f06,@object ; @__hip_cuid_b219e836c9020f06
	.section	.bss,"aw",@nobits
	.globl	__hip_cuid_b219e836c9020f06
__hip_cuid_b219e836c9020f06:
	.byte	0                               ; 0x0
	.size	__hip_cuid_b219e836c9020f06, 1

	.ident	"AMD clang version 22.0.0git (https://github.com/RadeonOpenCompute/llvm-project roc-7.2.4 26084 f58b06dce1f9c15707c5f808fd002e18c2accf7e)"
	.section	".note.GNU-stack","",@progbits
	.addrsig
	.addrsig_sym __hip_cuid_b219e836c9020f06
	.amdgpu_metadata
---
amdhsa.kernels:
  - .args:
      - .address_space:  global
        .offset:         0
        .size:           8
        .value_kind:     global_buffer
      - .address_space:  global
        .offset:         8
        .size:           8
        .value_kind:     global_buffer
      - .address_space:  global
        .offset:         16
        .size:           8
        .value_kind:     global_buffer
      - .address_space:  global
        .offset:         24
        .size:           8
        .value_kind:     global_buffer
      - .address_space:  global
        .offset:         32
        .size:           8
        .value_kind:     global_buffer
      - .address_space:  global
        .offset:         40
        .size:           8
        .value_kind:     global_buffer
      - .offset:         48
        .size:           4
        .value_kind:     by_value
      - .offset:         52
        .size:           4
        .value_kind:     by_value
      - .offset:         56
        .size:           4
        .value_kind:     by_value
    .group_segment_fixed_size: 0
    .kernarg_segment_align: 8
    .kernarg_segment_size: 60
    .language:       OpenCL C
    .language_version:
      - 2
      - 0
    .max_flat_workgroup_size: 1024
    .name:           _ZN4vllm24merge_attn_states_kernelIfLj128EEEvPT_PfPKS1_PKfS5_S7_jjj
    .private_segment_fixed_size: 0
    .sgpr_count:     21
    .sgpr_spill_count: 0
    .symbol:         _ZN4vllm24merge_attn_states_kernelIfLj128EEEvPT_PfPKS1_PKfS5_S7_jjj.kd
    .uniform_work_group_size: 1
    .uses_dynamic_stack: false
    .vgpr_count:     29
    .vgpr_spill_count: 0
    .wavefront_size: 32
  - .args:
      - .address_space:  global
        .offset:         0
        .size:           8
        .value_kind:     global_buffer
      - .address_space:  global
        .offset:         8
        .size:           8
        .value_kind:     global_buffer
      - .address_space:  global
        .offset:         16
        .size:           8
        .value_kind:     global_buffer
      - .address_space:  global
        .offset:         24
        .size:           8
        .value_kind:     global_buffer
      - .address_space:  global
        .offset:         32
        .size:           8
        .value_kind:     global_buffer
      - .address_space:  global
        .offset:         40
        .size:           8
        .value_kind:     global_buffer
      - .offset:         48
        .size:           4
        .value_kind:     by_value
      - .offset:         52
        .size:           4
        .value_kind:     by_value
      - .offset:         56
        .size:           4
        .value_kind:     by_value
    .group_segment_fixed_size: 0
    .kernarg_segment_align: 8
    .kernarg_segment_size: 60
    .language:       OpenCL C
    .language_version:
      - 2
      - 0
    .max_flat_workgroup_size: 1024
    .name:           _ZN4vllm24merge_attn_states_kernelItLj128EEEvPT_PfPKS1_PKfS5_S7_jjj
    .private_segment_fixed_size: 0
    .sgpr_count:     21
    .sgpr_spill_count: 0
    .symbol:         _ZN4vllm24merge_attn_states_kernelItLj128EEEvPT_PfPKS1_PKfS5_S7_jjj.kd
    .uniform_work_group_size: 1
    .uses_dynamic_stack: false
    .vgpr_count:     29
    .vgpr_spill_count: 0
    .wavefront_size: 32
  - .args:
      - .address_space:  global
        .offset:         0
        .size:           8
        .value_kind:     global_buffer
      - .address_space:  global
        .offset:         8
        .size:           8
        .value_kind:     global_buffer
      - .address_space:  global
        .offset:         16
        .size:           8
        .value_kind:     global_buffer
      - .address_space:  global
        .offset:         24
        .size:           8
        .value_kind:     global_buffer
      - .address_space:  global
        .offset:         32
        .size:           8
        .value_kind:     global_buffer
      - .address_space:  global
        .offset:         40
        .size:           8
        .value_kind:     global_buffer
      - .offset:         48
        .size:           4
        .value_kind:     by_value
      - .offset:         52
        .size:           4
        .value_kind:     by_value
      - .offset:         56
        .size:           4
        .value_kind:     by_value
    .group_segment_fixed_size: 0
    .kernarg_segment_align: 8
    .kernarg_segment_size: 60
    .language:       OpenCL C
    .language_version:
      - 2
      - 0
    .max_flat_workgroup_size: 1024
    .name:           _ZN4vllm24merge_attn_states_kernelI14__hip_bfloat16Lj128EEEvPT_PfPKS2_PKfS6_S8_jjj
    .private_segment_fixed_size: 0
    .sgpr_count:     21
    .sgpr_spill_count: 0
    .symbol:         _ZN4vllm24merge_attn_states_kernelI14__hip_bfloat16Lj128EEEvPT_PfPKS2_PKfS6_S8_jjj.kd
    .uniform_work_group_size: 1
    .uses_dynamic_stack: false
    .vgpr_count:     32
    .vgpr_spill_count: 0
    .wavefront_size: 32
amdhsa.target:   amdgcn-amd-amdhsa--gfx1250
amdhsa.version:
  - 1
  - 2
...

	.end_amdgpu_metadata
